;; amdgpu-corpus repo=ROCm/rocFFT kind=compiled arch=gfx906 opt=O3
	.text
	.amdgcn_target "amdgcn-amd-amdhsa--gfx906"
	.amdhsa_code_object_version 6
	.protected	fft_rtc_fwd_len160_factors_4_10_4_wgs_192_tpt_16_dp_op_CI_CI_sbcc_twdbase6_3step_dirReg_intrinsicRead ; -- Begin function fft_rtc_fwd_len160_factors_4_10_4_wgs_192_tpt_16_dp_op_CI_CI_sbcc_twdbase6_3step_dirReg_intrinsicRead
	.globl	fft_rtc_fwd_len160_factors_4_10_4_wgs_192_tpt_16_dp_op_CI_CI_sbcc_twdbase6_3step_dirReg_intrinsicRead
	.p2align	8
	.type	fft_rtc_fwd_len160_factors_4_10_4_wgs_192_tpt_16_dp_op_CI_CI_sbcc_twdbase6_3step_dirReg_intrinsicRead,@function
fft_rtc_fwd_len160_factors_4_10_4_wgs_192_tpt_16_dp_op_CI_CI_sbcc_twdbase6_3step_dirReg_intrinsicRead: ; @fft_rtc_fwd_len160_factors_4_10_4_wgs_192_tpt_16_dp_op_CI_CI_sbcc_twdbase6_3step_dirReg_intrinsicRead
; %bb.0:
	s_load_dwordx8 s[8:15], s[4:5], 0x8
	s_load_dwordx2 s[34:35], s[4:5], 0x28
	s_movk_i32 s0, 0xc0
	v_cmp_gt_u32_e32 vcc, s0, v0
	s_and_saveexec_b64 s[0:1], vcc
	s_cbranch_execz .LBB0_2
; %bb.1:
	v_lshlrev_b32_e32 v5, 4, v0
	s_waitcnt lgkmcnt(0)
	global_load_dwordx4 v[1:4], v5, s[8:9]
	v_add_u32_e32 v5, 0, v5
	v_add_u32_e32 v5, 0x7800, v5
	s_waitcnt vmcnt(0)
	ds_write2_b64 v5, v[1:2], v[3:4] offset1:1
.LBB0_2:
	s_or_b64 exec, exec, s[0:1]
	s_waitcnt lgkmcnt(0)
	s_load_dwordx2 s[2:3], s[12:13], 0x8
	s_mov_b32 s7, 0
	s_mov_b64 s[30:31], 0
	s_waitcnt lgkmcnt(0)
	s_add_u32 s0, s2, -1
	s_addc_u32 s1, s3, -1
	s_add_u32 s8, 0, 0x55540000
	s_addc_u32 s9, 0, 0x55
	s_mul_hi_u32 s17, s8, -12
	s_add_i32 s9, s9, 0x15555500
	s_sub_i32 s17, s17, s8
	s_mul_i32 s20, s9, -12
	s_mul_i32 s16, s8, -12
	s_add_i32 s17, s17, s20
	s_mul_hi_u32 s18, s9, s16
	s_mul_i32 s19, s9, s16
	s_mul_i32 s21, s8, s17
	s_mul_hi_u32 s16, s8, s16
	s_mul_hi_u32 s20, s8, s17
	s_add_u32 s16, s16, s21
	s_addc_u32 s20, 0, s20
	s_add_u32 s16, s16, s19
	s_mul_hi_u32 s21, s9, s17
	s_addc_u32 s16, s20, s18
	s_addc_u32 s18, s21, 0
	s_mul_i32 s17, s9, s17
	s_add_u32 s16, s16, s17
	v_mov_b32_e32 v1, s16
	s_addc_u32 s17, 0, s18
	v_add_co_u32_e32 v1, vcc, s8, v1
	s_cmp_lg_u64 vcc, 0
	s_addc_u32 s8, s9, s17
	v_readfirstlane_b32 s17, v1
	s_mul_i32 s16, s0, s8
	s_mul_hi_u32 s18, s0, s17
	s_mul_hi_u32 s9, s0, s8
	s_add_u32 s16, s18, s16
	s_addc_u32 s9, 0, s9
	s_mul_hi_u32 s19, s1, s17
	s_mul_i32 s17, s1, s17
	s_add_u32 s16, s16, s17
	s_mul_hi_u32 s18, s1, s8
	s_addc_u32 s9, s9, s19
	s_addc_u32 s16, s18, 0
	s_mul_i32 s8, s1, s8
	s_add_u32 s8, s9, s8
	s_addc_u32 s9, 0, s16
	s_add_u32 s16, s8, 1
	s_addc_u32 s17, s9, 0
	s_add_u32 s18, s8, 2
	s_mul_i32 s20, s9, 12
	s_mul_hi_u32 s21, s8, 12
	s_addc_u32 s19, s9, 0
	s_add_i32 s21, s21, s20
	s_mul_i32 s20, s8, 12
	v_mov_b32_e32 v1, s20
	v_sub_co_u32_e32 v1, vcc, s0, v1
	s_cmp_lg_u64 vcc, 0
	s_subb_u32 s0, s1, s21
	v_subrev_co_u32_e32 v2, vcc, 12, v1
	s_cmp_lg_u64 vcc, 0
	s_subb_u32 s1, s0, 0
	v_readfirstlane_b32 s20, v2
	s_cmp_gt_u32 s20, 11
	s_cselect_b32 s20, -1, 0
	s_cmp_eq_u32 s1, 0
	s_cselect_b32 s1, s20, -1
	s_cmp_lg_u32 s1, 0
	s_cselect_b32 s1, s18, s16
	s_cselect_b32 s16, s19, s17
	v_readfirstlane_b32 s17, v1
	s_cmp_gt_u32 s17, 11
	s_cselect_b32 s17, -1, 0
	s_cmp_eq_u32 s0, 0
	s_cselect_b32 s0, s17, -1
	s_cmp_lg_u32 s0, 0
	s_cselect_b32 s1, s1, s8
	s_cselect_b32 s0, s16, s9
	s_add_u32 s8, s1, 1
	s_addc_u32 s9, s0, 0
	v_mov_b32_e32 v1, s8
	v_mov_b32_e32 v2, s9
	v_cmp_lt_u64_e32 vcc, s[6:7], v[1:2]
	s_cbranch_vccnz .LBB0_4
; %bb.3:
	v_cvt_f32_u32_e32 v1, s8
	s_sub_i32 s0, 0, s8
	s_mov_b32 s31, s7
	v_rcp_iflag_f32_e32 v1, v1
	v_mul_f32_e32 v1, 0x4f7ffffe, v1
	v_cvt_u32_f32_e32 v1, v1
	v_readfirstlane_b32 s1, v1
	s_mul_i32 s0, s0, s1
	s_mul_hi_u32 s0, s1, s0
	s_add_i32 s1, s1, s0
	s_mul_hi_u32 s0, s6, s1
	s_mul_i32 s16, s0, s8
	s_sub_i32 s16, s6, s16
	s_add_i32 s1, s0, 1
	s_sub_i32 s17, s16, s8
	s_cmp_ge_u32 s16, s8
	s_cselect_b32 s0, s1, s0
	s_cselect_b32 s16, s17, s16
	s_add_i32 s1, s0, 1
	s_cmp_ge_u32 s16, s8
	s_cselect_b32 s30, s1, s0
.LBB0_4:
	s_mul_i32 s0, s30, s9
	s_mul_hi_u32 s1, s30, s8
	s_add_i32 s1, s1, s0
	s_mul_i32 s0, s30, s8
	s_load_dwordx4 s[20:23], s[4:5], 0x60
	s_load_dwordx2 s[28:29], s[4:5], 0x0
	s_load_dwordx4 s[24:27], s[14:15], 0x0
	s_load_dwordx4 s[16:19], s[34:35], 0x0
	s_sub_u32 s46, s6, s0
	s_subb_u32 s0, 0, s1
	s_mul_i32 s0, s0, 12
	s_mul_hi_u32 s33, s46, 12
	s_add_i32 s33, s33, s0
	s_mul_i32 s46, s46, 12
	s_waitcnt lgkmcnt(0)
	s_mul_i32 s0, s26, s33
	s_mul_hi_u32 s1, s26, s46
	s_add_i32 s0, s1, s0
	s_mul_i32 s1, s27, s46
	s_add_i32 s48, s0, s1
	s_mul_i32 s0, s18, s33
	s_mul_hi_u32 s1, s18, s46
	s_add_i32 s0, s1, s0
	s_mul_i32 s1, s19, s46
	s_add_i32 s25, s0, s1
	v_cmp_lt_u64_e64 s[0:1], s[10:11], 3
	s_mul_i32 s47, s26, s46
	s_mul_i32 s27, s18, s46
	s_and_b64 vcc, exec, s[0:1]
	s_cbranch_vccnz .LBB0_14
; %bb.5:
	s_add_u32 s4, s34, 16
	s_addc_u32 s5, s35, 0
	s_add_u32 s36, s14, 16
	s_addc_u32 s37, s15, 0
	s_add_u32 s12, s12, 16
	v_mov_b32_e32 v1, s10
	s_addc_u32 s13, s13, 0
	s_mov_b64 s[38:39], 2
	s_mov_b32 s40, 0
	v_mov_b32_e32 v2, s11
.LBB0_6:                                ; =>This Inner Loop Header: Depth=1
	s_load_dwordx2 s[42:43], s[12:13], 0x0
	s_waitcnt lgkmcnt(0)
	s_or_b64 s[0:1], s[30:31], s[42:43]
	s_mov_b32 s41, s1
	s_cmp_lg_u64 s[40:41], 0
	s_cbranch_scc0 .LBB0_11
; %bb.7:                                ;   in Loop: Header=BB0_6 Depth=1
	v_cvt_f32_u32_e32 v3, s42
	v_cvt_f32_u32_e32 v4, s43
	s_sub_u32 s0, 0, s42
	s_subb_u32 s1, 0, s43
	v_mac_f32_e32 v3, 0x4f800000, v4
	v_rcp_f32_e32 v3, v3
	v_mul_f32_e32 v3, 0x5f7ffffc, v3
	v_mul_f32_e32 v4, 0x2f800000, v3
	v_trunc_f32_e32 v4, v4
	v_mac_f32_e32 v3, 0xcf800000, v4
	v_cvt_u32_f32_e32 v4, v4
	v_cvt_u32_f32_e32 v3, v3
	v_readfirstlane_b32 s41, v4
	v_readfirstlane_b32 s44, v3
	s_mul_i32 s45, s0, s41
	s_mul_hi_u32 s50, s0, s44
	s_mul_i32 s49, s1, s44
	s_add_i32 s45, s50, s45
	s_mul_i32 s51, s0, s44
	s_add_i32 s45, s45, s49
	s_mul_hi_u32 s49, s44, s45
	s_mul_i32 s50, s44, s45
	s_mul_hi_u32 s44, s44, s51
	s_add_u32 s44, s44, s50
	s_addc_u32 s49, 0, s49
	s_mul_hi_u32 s52, s41, s51
	s_mul_i32 s51, s41, s51
	s_add_u32 s44, s44, s51
	s_mul_hi_u32 s50, s41, s45
	s_addc_u32 s44, s49, s52
	s_addc_u32 s49, s50, 0
	s_mul_i32 s45, s41, s45
	s_add_u32 s44, s44, s45
	s_addc_u32 s45, 0, s49
	v_add_co_u32_e32 v3, vcc, s44, v3
	s_cmp_lg_u64 vcc, 0
	s_addc_u32 s41, s41, s45
	v_readfirstlane_b32 s45, v3
	s_mul_i32 s44, s0, s41
	s_mul_hi_u32 s49, s0, s45
	s_add_i32 s44, s49, s44
	s_mul_i32 s1, s1, s45
	s_add_i32 s44, s44, s1
	s_mul_i32 s0, s0, s45
	s_mul_hi_u32 s49, s41, s0
	s_mul_i32 s50, s41, s0
	s_mul_i32 s52, s45, s44
	s_mul_hi_u32 s0, s45, s0
	s_mul_hi_u32 s51, s45, s44
	s_add_u32 s0, s0, s52
	s_addc_u32 s45, 0, s51
	s_add_u32 s0, s0, s50
	s_mul_hi_u32 s1, s41, s44
	s_addc_u32 s0, s45, s49
	s_addc_u32 s1, s1, 0
	s_mul_i32 s44, s41, s44
	s_add_u32 s0, s0, s44
	s_addc_u32 s1, 0, s1
	v_add_co_u32_e32 v3, vcc, s0, v3
	s_cmp_lg_u64 vcc, 0
	s_addc_u32 s0, s41, s1
	v_readfirstlane_b32 s44, v3
	s_mul_i32 s41, s30, s0
	s_mul_hi_u32 s45, s30, s44
	s_mul_hi_u32 s1, s30, s0
	s_add_u32 s41, s45, s41
	s_addc_u32 s1, 0, s1
	s_mul_hi_u32 s49, s31, s44
	s_mul_i32 s44, s31, s44
	s_add_u32 s41, s41, s44
	s_mul_hi_u32 s45, s31, s0
	s_addc_u32 s1, s1, s49
	s_addc_u32 s41, s45, 0
	s_mul_i32 s0, s31, s0
	s_add_u32 s44, s1, s0
	s_addc_u32 s41, 0, s41
	s_mul_i32 s0, s42, s41
	s_mul_hi_u32 s1, s42, s44
	s_add_i32 s0, s1, s0
	s_mul_i32 s1, s43, s44
	s_add_i32 s45, s0, s1
	s_mul_i32 s1, s42, s44
	v_mov_b32_e32 v3, s1
	s_sub_i32 s0, s31, s45
	v_sub_co_u32_e32 v3, vcc, s30, v3
	s_cmp_lg_u64 vcc, 0
	s_subb_u32 s49, s0, s43
	v_subrev_co_u32_e64 v4, s[0:1], s42, v3
	s_cmp_lg_u64 s[0:1], 0
	s_subb_u32 s0, s49, 0
	s_cmp_ge_u32 s0, s43
	v_readfirstlane_b32 s49, v4
	s_cselect_b32 s1, -1, 0
	s_cmp_ge_u32 s49, s42
	s_cselect_b32 s49, -1, 0
	s_cmp_eq_u32 s0, s43
	s_cselect_b32 s0, s49, s1
	s_add_u32 s1, s44, 1
	s_addc_u32 s49, s41, 0
	s_add_u32 s50, s44, 2
	s_addc_u32 s51, s41, 0
	s_cmp_lg_u32 s0, 0
	s_cselect_b32 s0, s50, s1
	s_cselect_b32 s1, s51, s49
	s_cmp_lg_u64 vcc, 0
	s_subb_u32 s45, s31, s45
	s_cmp_ge_u32 s45, s43
	v_readfirstlane_b32 s50, v3
	s_cselect_b32 s49, -1, 0
	s_cmp_ge_u32 s50, s42
	s_cselect_b32 s50, -1, 0
	s_cmp_eq_u32 s45, s43
	s_cselect_b32 s45, s50, s49
	s_cmp_lg_u32 s45, 0
	s_cselect_b32 s1, s1, s41
	s_cselect_b32 s0, s0, s44
	s_cbranch_execnz .LBB0_9
.LBB0_8:                                ;   in Loop: Header=BB0_6 Depth=1
	v_cvt_f32_u32_e32 v3, s42
	s_sub_i32 s0, 0, s42
	v_rcp_iflag_f32_e32 v3, v3
	v_mul_f32_e32 v3, 0x4f7ffffe, v3
	v_cvt_u32_f32_e32 v3, v3
	v_readfirstlane_b32 s1, v3
	s_mul_i32 s0, s0, s1
	s_mul_hi_u32 s0, s1, s0
	s_add_i32 s1, s1, s0
	s_mul_hi_u32 s0, s30, s1
	s_mul_i32 s41, s0, s42
	s_sub_i32 s41, s30, s41
	s_add_i32 s1, s0, 1
	s_sub_i32 s44, s41, s42
	s_cmp_ge_u32 s41, s42
	s_cselect_b32 s0, s1, s0
	s_cselect_b32 s41, s44, s41
	s_add_i32 s1, s0, 1
	s_cmp_ge_u32 s41, s42
	s_cselect_b32 s0, s1, s0
	s_mov_b32 s1, s40
.LBB0_9:                                ;   in Loop: Header=BB0_6 Depth=1
	s_mul_i32 s9, s42, s9
	s_mul_hi_u32 s41, s42, s8
	s_add_i32 s9, s41, s9
	s_mul_i32 s41, s43, s8
	s_add_i32 s9, s9, s41
	s_mul_i32 s41, s0, s43
	s_mul_hi_u32 s43, s0, s42
	s_load_dwordx2 s[44:45], s[36:37], 0x0
	s_add_i32 s41, s43, s41
	s_mul_i32 s43, s1, s42
	s_mul_i32 s8, s42, s8
	s_add_i32 s41, s41, s43
	s_mul_i32 s42, s0, s42
	s_sub_u32 s42, s30, s42
	s_subb_u32 s41, s31, s41
	s_waitcnt lgkmcnt(0)
	s_mul_i32 s30, s44, s41
	s_mul_hi_u32 s31, s44, s42
	s_add_i32 s43, s31, s30
	s_load_dwordx2 s[30:31], s[4:5], 0x0
	s_mul_i32 s45, s45, s42
	s_add_i32 s43, s43, s45
	s_mul_i32 s44, s44, s42
	s_add_u32 s47, s44, s47
	s_addc_u32 s48, s43, s48
	s_waitcnt lgkmcnt(0)
	s_mul_i32 s41, s30, s41
	s_mul_hi_u32 s43, s30, s42
	s_add_i32 s41, s43, s41
	s_mul_i32 s31, s31, s42
	s_add_i32 s41, s41, s31
	s_mul_i32 s30, s30, s42
	s_add_u32 s27, s30, s27
	s_addc_u32 s25, s41, s25
	s_add_u32 s38, s38, 1
	s_addc_u32 s39, s39, 0
	;; [unrolled: 2-line block ×4, first 2 shown]
	v_cmp_ge_u64_e32 vcc, s[38:39], v[1:2]
	s_add_u32 s12, s12, 8
	s_addc_u32 s13, s13, 0
	s_cbranch_vccnz .LBB0_12
; %bb.10:                               ;   in Loop: Header=BB0_6 Depth=1
	s_mov_b64 s[30:31], s[0:1]
	s_branch .LBB0_6
.LBB0_11:                               ;   in Loop: Header=BB0_6 Depth=1
                                        ; implicit-def: $sgpr0_sgpr1
	s_branch .LBB0_8
.LBB0_12:
	v_mov_b32_e32 v1, s8
	v_mov_b32_e32 v2, s9
	v_cmp_lt_u64_e32 vcc, s[6:7], v[1:2]
	s_mov_b64 s[30:31], 0
	s_cbranch_vccnz .LBB0_14
; %bb.13:
	v_cvt_f32_u32_e32 v1, s8
	s_sub_i32 s0, 0, s8
	v_rcp_iflag_f32_e32 v1, v1
	v_mul_f32_e32 v1, 0x4f7ffffe, v1
	v_cvt_u32_f32_e32 v1, v1
	v_readfirstlane_b32 s1, v1
	s_mul_i32 s0, s0, s1
	s_mul_hi_u32 s0, s1, s0
	s_add_i32 s1, s1, s0
	s_mul_hi_u32 s0, s6, s1
	s_mul_i32 s4, s0, s8
	s_sub_i32 s4, s6, s4
	s_add_i32 s1, s0, 1
	s_sub_i32 s5, s4, s8
	s_cmp_ge_u32 s4, s8
	s_cselect_b32 s0, s1, s0
	s_cselect_b32 s4, s5, s4
	s_add_i32 s1, s0, 1
	s_cmp_ge_u32 s4, s8
	s_cselect_b32 s30, s1, s0
.LBB0_14:
	s_lshl_b64 s[0:1], s[10:11], 3
	s_add_u32 s4, s14, s0
	s_addc_u32 s5, s15, s1
	s_load_dword s4, s[4:5], 0x0
	s_mov_b32 s6, 0x15555556
	v_mul_hi_u32 v113, v0, s6
	v_mov_b32_e32 v51, s3
	v_mov_b32_e32 v50, s2
	s_waitcnt lgkmcnt(0)
	s_mul_i32 s4, s4, s30
	v_mul_u32_u24_e32 v1, 12, v113
	s_add_i32 s4, s4, s47
	v_sub_u32_e32 v115, v0, v1
	s_add_u32 s6, s34, s0
	s_addc_u32 s7, s35, s1
	v_mov_b32_e32 v1, s33
	v_add_co_u32_e32 v48, vcc, s46, v115
	v_addc_co_u32_e32 v49, vcc, 0, v1, vcc
	s_add_u32 s12, s46, 12
	v_mul_lo_u32 v17, s26, v115
	v_mul_lo_u32 v1, s24, v113
	s_addc_u32 s13, s33, 0
	v_cmp_le_u64_e32 vcc, s[12:13], v[50:51]
	v_cmp_gt_u64_e64 s[2:3], s[2:3], v[48:49]
	v_add_lshl_u32 v1, v17, v1, 4
	s_or_b64 s[0:1], vcc, s[2:3]
	v_add_u32_e32 v116, 40, v113
	v_cndmask_b32_e64 v9, -1, v1, s[0:1]
	v_mul_lo_u32 v1, s24, v116
	v_add_u32_e32 v2, 0x78, v113
	v_mul_lo_u32 v2, s24, v2
	v_add_u32_e32 v3, 0x50, v113
	v_mul_lo_u32 v3, s24, v3
	v_add_lshl_u32 v1, v17, v1, 4
	v_cndmask_b32_e64 v10, -1, v1, s[0:1]
	v_add_lshl_u32 v1, v17, v2, 4
	s_lshl_b32 s14, s4, 4
	s_mov_b32 s11, 0x20000
	s_mov_b32 s10, -2
	s_mov_b32 s8, s20
	s_mov_b32 s9, s21
	v_cndmask_b32_e64 v19, -1, v1, s[0:1]
	v_add_lshl_u32 v1, v17, v3, 4
	v_cndmask_b32_e64 v20, -1, v1, s[0:1]
	buffer_load_dwordx4 v[1:4], v10, s[8:11], s14 offen
	buffer_load_dwordx4 v[5:8], v9, s[8:11], s14 offen
	v_add_u32_e32 v9, 56, v113
	v_add_u32_e32 v10, 0x88, v113
	v_mul_lo_u32 v21, s24, v9
	v_mul_lo_u32 v22, s24, v10
	buffer_load_dwordx4 v[9:12], v19, s[8:11], s14 offen
	buffer_load_dwordx4 v[13:16], v20, s[8:11], s14 offen
	v_add_u32_e32 v117, 16, v113
	v_add_lshl_u32 v19, v17, v21, 4
	v_or_b32_e32 v21, 0x60, v113
	v_add_lshl_u32 v20, v17, v22, 4
	v_mul_lo_u32 v22, s24, v117
	v_mul_lo_u32 v21, s24, v21
	v_cndmask_b32_e64 v35, -1, v19, s[0:1]
	v_cndmask_b32_e64 v36, -1, v20, s[0:1]
	v_add_lshl_u32 v19, v17, v22, 4
	v_add_lshl_u32 v20, v17, v21, 4
	v_cndmask_b32_e64 v37, -1, v19, s[0:1]
	v_cndmask_b32_e64 v38, -1, v20, s[0:1]
	s_movk_i32 s0, 0x60
	s_movk_i32 s1, 0x5f
	v_or_b32_e32 v114, 32, v113
	buffer_load_dwordx4 v[19:22], v35, s[8:11], s14 offen
	buffer_load_dwordx4 v[23:26], v37, s[8:11], s14 offen
	;; [unrolled: 1-line block ×4, first 2 shown]
	v_cmp_lt_u32_e64 s[4:5], s1, v0
	v_cmp_gt_u32_e64 s[0:1], s0, v0
	v_mul_lo_u32 v35, s24, v114
	v_cndmask_b32_e64 v18, 0, 1, s[2:3]
	v_cndmask_b32_e64 v0, 0, 1, s[0:1]
	v_add_u32_e32 v112, 0x48, v113
	s_or_b64 vcc, s[4:5], vcc
	v_mul_lo_u32 v36, s24, v112
	v_cndmask_b32_e32 v0, v18, v0, vcc
	v_and_b32_e32 v0, 1, v0
	v_add_lshl_u32 v18, v17, v35, 4
	v_cmp_eq_u32_e32 vcc, 1, v0
	v_add_u32_e32 v111, 0x70, v113
	v_cndmask_b32_e32 v0, -1, v18, vcc
	v_mul_lo_u32 v18, s24, v111
	v_add_u32_e32 v110, 0x98, v113
	v_add_lshl_u32 v35, v17, v36, 4
	v_mul_lo_u32 v36, s24, v110
	v_add_lshl_u32 v18, v17, v18, 4
	v_cndmask_b32_e32 v18, -1, v18, vcc
	v_cndmask_b32_e32 v47, -1, v35, vcc
	v_add_lshl_u32 v17, v17, v36, 4
	v_cndmask_b32_e32 v17, -1, v17, vcc
	buffer_load_dwordx4 v[35:38], v18, s[8:11], s14 offen
	buffer_load_dwordx4 v[39:42], v0, s[8:11], s14 offen
	;; [unrolled: 1-line block ×4, first 2 shown]
	v_lshlrev_b32_e32 v47, 4, v115
	s_waitcnt vmcnt(9)
	v_add_f64 v[9:10], v[1:2], -v[9:10]
	v_add_f64 v[11:12], v[3:4], -v[11:12]
	s_waitcnt vmcnt(8)
	v_add_f64 v[13:14], v[5:6], -v[13:14]
	v_add_f64 v[15:16], v[7:8], -v[15:16]
	v_fma_f64 v[56:57], v[1:2], 2.0, -v[9:10]
	v_fma_f64 v[58:59], v[3:4], 2.0, -v[11:12]
	v_add_f64 v[0:1], v[13:14], -v[11:12]
	v_add_f64 v[2:3], v[15:16], v[9:10]
	v_fma_f64 v[9:10], v[5:6], 2.0, -v[13:14]
	v_fma_f64 v[11:12], v[7:8], 2.0, -v[15:16]
	v_mul_u32_u24_e32 v4, 48, v113
	v_lshl_add_u32 v18, v4, 4, 0
	v_add_u32_e32 v49, v18, v47
	v_fma_f64 v[4:5], v[13:14], 2.0, -v[0:1]
	v_fma_f64 v[6:7], v[15:16], 2.0, -v[2:3]
	v_add_f64 v[56:57], v[9:10], -v[56:57]
	s_waitcnt vmcnt(5)
	v_add_f64 v[16:17], v[19:20], -v[27:28]
	v_add_f64 v[27:28], v[21:22], -v[29:30]
	s_waitcnt vmcnt(4)
	v_add_f64 v[29:30], v[23:24], -v[31:32]
	v_add_f64 v[31:32], v[25:26], -v[33:34]
	;; [unrolled: 1-line block ×3, first 2 shown]
	ds_write_b128 v49, v[0:3] offset:576
	ds_write_b128 v49, v[4:7] offset:192
	v_fma_f64 v[0:1], v[9:10], 2.0, -v[56:57]
	v_fma_f64 v[4:5], v[19:20], 2.0, -v[16:17]
	;; [unrolled: 1-line block ×6, first 2 shown]
	v_add_f64 v[20:21], v[29:30], -v[27:28]
	v_add_f64 v[22:23], v[31:32], v[16:17]
	ds_write_b128 v49, v[56:59] offset:384
	ds_write_b128 v49, v[0:3]
	s_waitcnt vmcnt(2)
	v_add_f64 v[8:9], v[39:40], -v[35:36]
	v_add_f64 v[14:15], v[41:42], -v[37:38]
	s_waitcnt vmcnt(0)
	v_add_f64 v[36:37], v[43:44], -v[52:53]
	v_add_f64 v[52:53], v[45:46], -v[54:55]
	;; [unrolled: 1-line block ×4, first 2 shown]
	v_fma_f64 v[28:29], v[29:30], 2.0, -v[20:21]
	v_fma_f64 v[30:31], v[31:32], 2.0, -v[22:23]
	;; [unrolled: 1-line block ×8, first 2 shown]
	s_load_dwordx2 s[6:7], s[6:7], 0x0
	v_add_u32_e32 v19, 0x3000, v18
	v_add_u32_e32 v16, v19, v47
	ds_write_b128 v16, v[20:23] offset:576
	ds_write_b128 v16, v[28:31] offset:192
	;; [unrolled: 1-line block ×3, first 2 shown]
	ds_write_b128 v16, v[32:35]
	v_add_f64 v[0:1], v[10:11], -v[4:5]
	v_add_f64 v[2:3], v[12:13], -v[6:7]
	;; [unrolled: 1-line block ×3, first 2 shown]
	v_add_f64 v[6:7], v[14:15], v[36:37]
	s_and_saveexec_b64 s[4:5], s[0:1]
	s_cbranch_execz .LBB0_16
; %bb.15:
	v_fma_f64 v[22:23], v[12:13], 2.0, -v[2:3]
	v_fma_f64 v[20:21], v[10:11], 2.0, -v[0:1]
	;; [unrolled: 1-line block ×4, first 2 shown]
	v_lshl_add_u32 v8, v115, 4, v19
	ds_write_b128 v8, v[0:3] offset:12672
	ds_write_b128 v8, v[20:23] offset:12288
	;; [unrolled: 1-line block ×4, first 2 shown]
.LBB0_16:
	s_or_b64 exec, exec, s[4:5]
	v_and_b32_e32 v16, 3, v113
	v_mul_u32_u24_e32 v8, 9, v16
	v_lshlrev_b32_e32 v17, 4, v8
	s_waitcnt lgkmcnt(0)
	s_barrier
	global_load_dwordx4 v[8:11], v17, s[28:29]
	global_load_dwordx4 v[12:15], v17, s[28:29] offset:16
	global_load_dwordx4 v[20:23], v17, s[28:29] offset:32
	;; [unrolled: 1-line block ×8, first 2 shown]
	v_lshlrev_b32_e32 v17, 4, v115
	v_mul_i32_i24_e32 v52, 0xfffffdc0, v117
	v_mul_i32_i24_e32 v49, 0xfffffdc0, v113
	v_add3_u32 v52, v19, v52, v17
	v_add3_u32 v49, v18, v49, v17
	ds_read_b128 v[53:56], v52
	ds_read_b128 v[57:60], v52 offset:3072
	ds_read_b128 v[61:64], v49
	ds_read_b128 v[65:68], v49 offset:9216
	ds_read_b128 v[69:72], v49 offset:12288
	;; [unrolled: 1-line block ×7, first 2 shown]
	s_mov_b32 s4, 0x134454ff
	s_mov_b32 s5, 0x3fee6f0e
	;; [unrolled: 1-line block ×12, first 2 shown]
	s_waitcnt vmcnt(0) lgkmcnt(0)
	s_barrier
	v_cmp_gt_u64_e32 vcc, s[12:13], v[50:51]
	v_mul_f64 v[18:19], v[55:56], v[10:11]
	v_mul_f64 v[10:11], v[53:54], v[10:11]
	;; [unrolled: 1-line block ×18, first 2 shown]
	v_fma_f64 v[18:19], v[53:54], v[8:9], -v[18:19]
	v_fma_f64 v[8:9], v[55:56], v[8:9], v[10:11]
	v_fma_f64 v[10:11], v[57:58], v[12:13], -v[93:94]
	v_fma_f64 v[12:13], v[59:60], v[12:13], v[14:15]
	;; [unrolled: 2-line block ×6, first 2 shown]
	v_fma_f64 v[34:35], v[87:88], v[40:41], v[42:43]
	v_fma_f64 v[42:43], v[81:82], v[36:37], -v[103:104]
	v_fma_f64 v[36:37], v[83:84], v[36:37], v[38:39]
	v_fma_f64 v[38:39], v[85:86], v[40:41], -v[105:106]
	v_fma_f64 v[40:41], v[89:90], v[44:45], -v[107:108]
	v_fma_f64 v[44:45], v[91:92], v[44:45], v[46:47]
	v_add_f64 v[46:47], v[61:62], v[10:11]
	v_add_f64 v[53:54], v[22:23], v[30:31]
	v_add_f64 v[59:60], v[10:11], -v[22:23]
	v_add_f64 v[73:74], v[63:64], v[12:13]
	v_add_f64 v[75:76], v[24:25], v[32:33]
	v_add_f64 v[65:66], v[38:39], -v[30:31]
	v_add_f64 v[67:68], v[10:11], v[38:39]
	v_add_f64 v[55:56], v[12:13], -v[34:35]
	v_add_f64 v[57:58], v[24:25], -v[32:33]
	;; [unrolled: 1-line block ×6, first 2 shown]
	v_add_f64 v[83:84], v[12:13], v[34:35]
	v_add_f64 v[12:13], v[24:25], -v[12:13]
	v_add_f64 v[22:23], v[46:47], v[22:23]
	v_fma_f64 v[46:47], v[53:54], -0.5, v[61:62]
	v_add_f64 v[53:54], v[59:60], v[65:66]
	v_fma_f64 v[59:60], v[67:68], -0.5, v[61:62]
	;; [unrolled: 2-line block ×3, first 2 shown]
	v_add_f64 v[71:72], v[30:31], -v[38:39]
	v_add_f64 v[81:82], v[34:35], -v[32:33]
	;; [unrolled: 1-line block ×3, first 2 shown]
	v_add_f64 v[22:23], v[22:23], v[30:31]
	v_fma_f64 v[30:31], v[55:56], s[4:5], v[46:47]
	v_fma_f64 v[46:47], v[55:56], s[14:15], v[46:47]
	;; [unrolled: 1-line block ×3, first 2 shown]
	v_add_f64 v[24:25], v[24:25], v[32:33]
	v_fma_f64 v[32:33], v[10:11], s[14:15], v[65:66]
	v_add_f64 v[87:88], v[18:19], v[14:15]
	v_add_f64 v[61:62], v[69:70], v[71:72]
	;; [unrolled: 1-line block ×3, first 2 shown]
	v_fma_f64 v[63:64], v[83:84], -0.5, v[63:64]
	v_fma_f64 v[59:60], v[57:58], s[4:5], v[59:60]
	v_fma_f64 v[65:66], v[10:11], s[4:5], v[65:66]
	;; [unrolled: 1-line block ×6, first 2 shown]
	v_add_f64 v[89:90], v[26:27], v[42:43]
	v_add_f64 v[69:70], v[87:88], v[26:27]
	v_fma_f64 v[75:76], v[77:78], s[4:5], v[63:64]
	v_fma_f64 v[63:64], v[77:78], s[14:15], v[63:64]
	;; [unrolled: 1-line block ×3, first 2 shown]
	v_add_f64 v[38:39], v[22:23], v[38:39]
	v_add_f64 v[59:60], v[24:25], v[34:35]
	v_fma_f64 v[22:23], v[77:78], s[8:9], v[65:66]
	v_fma_f64 v[65:66], v[53:54], s[10:11], v[30:31]
	;; [unrolled: 1-line block ×5, first 2 shown]
	v_add_f64 v[32:33], v[14:15], -v[26:27]
	v_add_f64 v[34:35], v[40:41], -v[42:43]
	;; [unrolled: 1-line block ×3, first 2 shown]
	v_fma_f64 v[71:72], v[89:90], -0.5, v[18:19]
	v_fma_f64 v[55:56], v[61:62], s[10:11], v[55:56]
	v_fma_f64 v[61:62], v[10:11], s[20:21], v[75:76]
	v_add_f64 v[12:13], v[12:13], v[85:86]
	v_fma_f64 v[67:68], v[67:68], s[10:11], v[22:23]
	v_fma_f64 v[10:11], v[10:11], s[8:9], v[63:64]
	v_add_f64 v[22:23], v[69:70], v[42:43]
	v_add_f64 v[32:33], v[32:33], v[34:35]
	;; [unrolled: 1-line block ×4, first 2 shown]
	v_fma_f64 v[24:25], v[91:92], s[4:5], v[71:72]
	v_fma_f64 v[61:62], v[12:13], s[10:11], v[61:62]
	;; [unrolled: 1-line block ×4, first 2 shown]
	v_add_f64 v[12:13], v[22:23], v[40:41]
	v_add_f64 v[22:23], v[20:21], v[44:45]
	v_fma_f64 v[34:35], v[34:35], -0.5, v[8:9]
	v_add_f64 v[71:72], v[14:15], -v[40:41]
	v_add_f64 v[30:31], v[28:29], -v[36:37]
	v_fma_f64 v[18:19], v[93:94], -0.5, v[18:19]
	v_add_f64 v[73:74], v[8:9], v[20:21]
	v_add_f64 v[75:76], v[26:27], -v[42:43]
	v_add_f64 v[14:15], v[26:27], -v[14:15]
	v_fma_f64 v[8:9], v[22:23], -0.5, v[8:9]
	v_add_f64 v[22:23], v[42:43], -v[40:41]
	v_fma_f64 v[26:27], v[71:72], s[14:15], v[34:35]
	v_add_f64 v[40:41], v[20:21], -v[28:29]
	v_add_f64 v[42:43], v[44:45], -v[36:37]
	v_fma_f64 v[24:25], v[30:31], s[8:9], v[24:25]
	v_fma_f64 v[69:70], v[30:31], s[14:15], v[18:19]
	;; [unrolled: 1-line block ×4, first 2 shown]
	v_add_f64 v[30:31], v[73:74], v[28:29]
	v_add_f64 v[20:21], v[28:29], -v[20:21]
	v_add_f64 v[28:29], v[36:37], -v[44:45]
	v_fma_f64 v[26:27], v[75:76], s[20:21], v[26:27]
	v_add_f64 v[40:41], v[40:41], v[42:43]
	v_fma_f64 v[73:74], v[75:76], s[4:5], v[8:9]
	v_fma_f64 v[8:9], v[75:76], s[14:15], v[8:9]
	;; [unrolled: 1-line block ×4, first 2 shown]
	v_add_f64 v[14:15], v[14:15], v[22:23]
	v_add_f64 v[20:21], v[20:21], v[28:29]
	;; [unrolled: 1-line block ×3, first 2 shown]
	v_fma_f64 v[26:27], v[40:41], s[10:11], v[26:27]
	v_fma_f64 v[22:23], v[71:72], s[20:21], v[73:74]
	;; [unrolled: 1-line block ×7, first 2 shown]
	v_add_f64 v[44:45], v[28:29], v[44:45]
	v_mul_f64 v[28:29], v[26:27], s[8:9]
	v_fma_f64 v[36:37], v[20:21], s[10:11], v[22:23]
	v_fma_f64 v[32:33], v[32:33], s[10:11], v[63:64]
	;; [unrolled: 1-line block ×5, first 2 shown]
	v_add_f64 v[18:19], v[38:39], v[12:13]
	v_add_f64 v[38:39], v[38:39], -v[12:13]
	v_fma_f64 v[42:43], v[24:25], s[34:35], v[28:29]
	v_mul_f64 v[24:25], v[24:25], s[20:21]
	v_mul_f64 v[20:21], v[36:37], s[4:5]
	;; [unrolled: 1-line block ×7, first 2 shown]
	v_fma_f64 v[73:74], v[26:27], s[34:35], v[24:25]
	v_fma_f64 v[71:72], v[34:35], s[10:11], v[20:21]
	;; [unrolled: 1-line block ×3, first 2 shown]
	v_fma_f64 v[8:9], v[8:9], s[4:5], -v[30:31]
	v_fma_f64 v[40:41], v[22:23], s[8:9], -v[40:41]
	;; [unrolled: 1-line block ×4, first 2 shown]
	v_add_f64 v[20:21], v[59:60], v[44:45]
	v_add_f64 v[22:23], v[65:66], v[42:43]
	;; [unrolled: 1-line block ×8, first 2 shown]
	v_add_f64 v[12:13], v[46:47], -v[40:41]
	v_lshrrev_b32_e32 v46, 2, v113
	v_add_f64 v[36:37], v[67:68], v[63:64]
	v_mul_u32_u24_e32 v46, 40, v46
	v_add_f64 v[40:41], v[59:60], -v[44:45]
	v_or_b32_e32 v16, v46, v16
	v_add_f64 v[42:43], v[65:66], -v[42:43]
	v_add_f64 v[44:45], v[57:58], -v[73:74]
	v_mul_u32_u24_e32 v16, 0xc0, v16
	v_add_f64 v[53:54], v[53:54], -v[71:72]
	v_add_f64 v[8:9], v[55:56], -v[8:9]
	;; [unrolled: 1-line block ×3, first 2 shown]
	v_add3_u32 v16, 0, v16, v17
	v_add_f64 v[10:11], v[10:11], -v[14:15]
	v_add_f64 v[14:15], v[67:68], -v[63:64]
	ds_write_b128 v16, v[18:21]
	ds_write_b128 v16, v[22:25] offset:768
	ds_write_b128 v16, v[26:29] offset:1536
	;; [unrolled: 1-line block ×9, first 2 shown]
	s_waitcnt lgkmcnt(0)
	s_barrier
	ds_read_b128 v[20:23], v49
	ds_read_b128 v[36:39], v49 offset:7680
	ds_read_b128 v[40:43], v49 offset:15360
	;; [unrolled: 1-line block ×5, first 2 shown]
	ds_read_b128 v[16:19], v52
	ds_read_b128 v[24:27], v49 offset:26112
	s_and_saveexec_b64 s[4:5], s[0:1]
	s_cbranch_execz .LBB0_18
; %bb.17:
	v_add_u32_e32 v4, 0xc00, v52
	ds_read_b128 v[12:15], v49 offset:13824
	ds_read_b128 v[0:3], v49 offset:21504
	ds_read_b128 v[8:11], v4
	ds_read_b128 v[4:7], v49 offset:29184
.LBB0_18:
	s_or_b64 exec, exec, s[4:5]
	v_mul_u32_u24_e32 v49, 3, v113
	v_lshlrev_b32_e32 v49, 4, v49
	global_load_dwordx4 v[51:54], v49, s[28:29] offset:576
	global_load_dwordx4 v[55:58], v49, s[28:29] offset:592
	;; [unrolled: 1-line block ×3, first 2 shown]
	s_mov_b32 s8, 0x6666667
	v_mul_hi_u32 v118, v117, s8
	v_mov_b32_e32 v50, 0
	v_mov_b32_e32 v63, s29
	v_mul_hi_u32 v121, v114, s8
	v_mul_u32_u24_e32 v49, 40, v118
	v_sub_u32_e32 v109, v117, v49
	v_mul_i32_i24_e32 v49, 3, v109
	v_lshlrev_b64 v[49:50], 4, v[49:50]
	v_add_co_u32_e64 v49, s[4:5], s28, v49
	v_addc_co_u32_e64 v50, s[4:5], v63, v50, s[4:5]
	global_load_dwordx4 v[63:66], v[49:50], off offset:576
	global_load_dwordx4 v[67:70], v[49:50], off offset:592
	;; [unrolled: 1-line block ×3, first 2 shown]
	v_mul_lo_u32 v50, v113, v48
	v_mul_lo_u32 v49, v48, 40
	s_mul_i32 s4, s7, s30
	s_mul_hi_u32 s5, s6, s30
	s_mul_i32 s6, s6, s30
	v_add_u32_e32 v77, v50, v49
	s_add_i32 s5, s5, s4
	v_add_u32_e32 v123, v77, v49
	s_add_u32 s4, s6, s27
	v_and_b32_e32 v75, 63, v50
	v_lshrrev_b32_e32 v76, 2, v50
	v_lshrrev_b32_e32 v50, 8, v50
	;; [unrolled: 1-line block ×4, first 2 shown]
	s_addc_u32 s5, s5, s25
	s_add_i32 s6, 0, 0x7800
	v_and_b32_e32 v76, 0x3f0, v76
	v_and_b32_e32 v78, 63, v77
	;; [unrolled: 1-line block ×3, first 2 shown]
	v_lshrrev_b32_e32 v77, 8, v77
	v_and_b32_e32 v84, 0x3f0, v79
	v_and_b32_e32 v85, 63, v123
	;; [unrolled: 1-line block ×3, first 2 shown]
	v_lshl_add_u32 v75, v75, 4, 0
	v_add_u32_e32 v80, s6, v76
	v_lshl_add_u32 v83, v78, 4, 0
	v_add_u32_e32 v50, s6, v50
	v_and_b32_e32 v91, 0x3f0, v77
	v_add_u32_e32 v92, s6, v84
	v_lshl_add_u32 v99, v85, 4, 0
	v_add_u32_e32 v103, s6, v93
	ds_read_b128 v[75:78], v75 offset:30720
	ds_read_b128 v[79:82], v80 offset:1024
	;; [unrolled: 1-line block ×4, first 2 shown]
	v_add_u32_e32 v50, s6, v91
	ds_read_b128 v[91:94], v92 offset:1024
	ds_read_b128 v[95:98], v50 offset:2048
	ds_read_b128 v[99:102], v99 offset:30720
	ds_read_b128 v[103:106], v103 offset:1024
	v_mul_u32_u24_e32 v50, 40, v121
	s_waitcnt lgkmcnt(6)
	v_mul_f64 v[107:108], v[75:76], v[81:82]
	v_mul_f64 v[81:82], v[77:78], v[81:82]
	s_waitcnt lgkmcnt(3)
	v_mul_f64 v[119:120], v[85:86], v[93:94]
	v_mul_f64 v[93:94], v[83:84], v[93:94]
	;; [unrolled: 3-line block ×3, first 2 shown]
	v_sub_u32_e32 v50, v114, v50
	s_and_b64 vcc, exec, vcc
	v_fma_f64 v[77:78], v[77:78], v[79:80], v[107:108]
	v_fma_f64 v[75:76], v[75:76], v[79:80], -v[81:82]
	v_fma_f64 v[79:80], v[83:84], v[91:92], -v[119:120]
	v_fma_f64 v[81:82], v[85:86], v[91:92], v[93:94]
	v_fma_f64 v[83:84], v[99:100], v[103:104], -v[121:122]
	v_fma_f64 v[85:86], v[101:102], v[103:104], v[105:106]
	v_add_u32_e32 v107, v123, v49
	v_mul_u32_u24_e32 v108, 3, v50
	v_mul_f64 v[91:92], v[77:78], v[89:90]
	v_mul_f64 v[89:90], v[75:76], v[89:90]
	;; [unrolled: 1-line block ×3, first 2 shown]
	v_fma_f64 v[75:76], v[87:88], v[75:76], -v[91:92]
	s_waitcnt vmcnt(5)
	v_mul_f64 v[99:100], v[36:37], v[53:54]
	s_waitcnt vmcnt(4)
	v_mul_f64 v[101:102], v[40:41], v[57:58]
	;; [unrolled: 2-line block ×3, first 2 shown]
	v_mul_f64 v[53:54], v[38:39], v[53:54]
	v_mul_f64 v[57:58], v[42:43], v[57:58]
	;; [unrolled: 1-line block ×3, first 2 shown]
	v_fma_f64 v[77:78], v[87:88], v[77:78], v[89:90]
	v_fma_f64 v[38:39], v[38:39], v[51:52], v[99:100]
	;; [unrolled: 1-line block ×4, first 2 shown]
	v_fma_f64 v[36:37], v[36:37], v[51:52], -v[53:54]
	v_fma_f64 v[40:41], v[40:41], v[55:56], -v[57:58]
	;; [unrolled: 1-line block ×3, first 2 shown]
	s_waitcnt vmcnt(2)
	v_mul_f64 v[51:52], v[30:31], v[65:66]
	v_mul_f64 v[53:54], v[28:29], v[65:66]
	s_waitcnt vmcnt(1)
	v_mul_f64 v[55:56], v[34:35], v[69:70]
	v_add_f64 v[42:43], v[22:23], -v[42:43]
	v_add_f64 v[40:41], v[20:21], -v[40:41]
	;; [unrolled: 1-line block ×4, first 2 shown]
	v_mul_f64 v[57:58], v[32:33], v[69:70]
	v_fma_f64 v[65:66], v[28:29], v[63:64], -v[51:52]
	v_fma_f64 v[63:64], v[30:31], v[63:64], v[53:54]
	s_waitcnt vmcnt(0)
	v_mul_f64 v[59:60], v[26:27], v[73:74]
	v_mul_f64 v[61:62], v[24:25], v[73:74]
	v_fma_f64 v[53:54], v[20:21], 2.0, -v[40:41]
	v_fma_f64 v[20:21], v[36:37], 2.0, -v[44:45]
	;; [unrolled: 1-line block ×4, first 2 shown]
	v_fma_f64 v[28:29], v[32:33], v[67:68], -v[55:56]
	v_add_f64 v[69:70], v[40:41], -v[46:47]
	v_fma_f64 v[38:39], v[34:35], v[67:68], v[57:58]
	v_add_f64 v[67:68], v[42:43], v[44:45]
	v_fma_f64 v[73:74], v[24:25], v[71:72], -v[59:60]
	v_add_f64 v[46:47], v[53:54], -v[20:21]
	v_lshrrev_b32_e32 v21, 2, v107
	v_and_b32_e32 v21, 0x3f0, v21
	v_add_f64 v[44:45], v[51:52], -v[22:23]
	v_fma_f64 v[59:60], v[26:27], v[71:72], v[61:62]
	v_add_f64 v[71:72], v[16:17], -v[28:29]
	v_add_u32_e32 v28, s6, v21
	v_lshrrev_b32_e32 v21, 8, v123
	v_and_b32_e32 v20, 63, v107
	v_and_b32_e32 v21, 0x3f0, v21
	v_lshl_add_u32 v20, v20, 4, 0
	v_add_u32_e32 v24, s6, v21
	ds_read_b128 v[20:23], v20 offset:30720
	ds_read_b128 v[24:27], v24 offset:2048
	;; [unrolled: 1-line block ×3, first 2 shown]
	v_fma_f64 v[51:52], v[51:52], 2.0, -v[44:45]
	v_mul_f64 v[36:37], v[81:82], v[97:98]
	v_fma_f64 v[42:43], v[42:43], 2.0, -v[67:68]
	v_fma_f64 v[57:58], v[95:96], v[81:82], v[93:94]
	s_waitcnt lgkmcnt(0)
	v_mul_f64 v[55:56], v[22:23], v[30:31]
	v_mul_f64 v[30:31], v[20:21], v[30:31]
	v_fma_f64 v[40:41], v[40:41], 2.0, -v[69:70]
	v_mul_f64 v[61:62], v[83:84], v[26:27]
	v_fma_f64 v[53:54], v[53:54], 2.0, -v[46:47]
	v_fma_f64 v[36:37], v[95:96], v[79:80], -v[36:37]
	v_mul_f64 v[26:27], v[85:86], v[26:27]
	v_lshrrev_b32_e32 v32, 8, v107
	v_fma_f64 v[55:56], v[20:21], v[28:29], -v[55:56]
	v_mul_f64 v[20:21], v[51:52], v[77:78]
	v_fma_f64 v[79:80], v[22:23], v[28:29], v[30:31]
	v_mul_f64 v[22:23], v[42:43], v[57:58]
	v_mul_f64 v[57:58], v[40:41], v[57:58]
	v_fma_f64 v[61:62], v[24:25], v[85:86], v[61:62]
	v_and_b32_e32 v32, 0x3f0, v32
	v_add_u32_e32 v32, s6, v32
	v_mul_f64 v[77:78], v[53:54], v[77:78]
	ds_read_b128 v[32:35], v32 offset:2048
	v_fma_f64 v[28:29], v[53:54], v[75:76], -v[20:21]
	v_mul_lo_u32 v53, v109, v48
	v_fma_f64 v[20:21], v[40:41], v[36:37], -v[22:23]
	v_fma_f64 v[22:23], v[42:43], v[36:37], v[57:58]
	v_fma_f64 v[26:27], v[24:25], v[83:84], -v[26:27]
	v_mul_f64 v[24:25], v[44:45], v[61:62]
	v_mul_f64 v[42:43], v[46:47], v[61:62]
	v_fma_f64 v[94:95], v[16:17], 2.0, -v[71:72]
	s_waitcnt lgkmcnt(0)
	v_mul_f64 v[16:17], v[55:56], v[34:35]
	v_fma_f64 v[30:31], v[51:52], v[75:76], v[77:78]
	v_mul_f64 v[51:52], v[79:80], v[34:35]
	v_lshrrev_b32_e32 v35, 2, v53
	v_and_b32_e32 v34, 63, v53
	v_and_b32_e32 v35, 0x3f0, v35
	v_add_f64 v[92:93], v[18:19], -v[38:39]
	v_lshl_add_u32 v34, v34, 4, 0
	v_add_u32_e32 v38, s6, v35
	ds_read_b128 v[34:37], v34 offset:30720
	ds_read_b128 v[38:41], v38 offset:1024
	v_add_u32_e32 v61, v53, v49
	v_fma_f64 v[24:25], v[46:47], v[26:27], -v[24:25]
	v_fma_f64 v[26:27], v[44:45], v[26:27], v[42:43]
	v_lshrrev_b32_e32 v43, 2, v61
	v_and_b32_e32 v42, 63, v61
	v_and_b32_e32 v43, 0x3f0, v43
	v_fma_f64 v[75:76], v[32:33], v[79:80], v[16:17]
	v_lshrrev_b32_e32 v16, 8, v53
	v_lshl_add_u32 v42, v42, 4, 0
	v_add_u32_e32 v54, s6, v43
	v_and_b32_e32 v16, 0x3f0, v16
	v_fma_f64 v[32:33], v[32:33], v[55:56], -v[51:52]
	s_waitcnt lgkmcnt(0)
	v_mul_f64 v[77:78], v[36:37], v[40:41]
	v_mul_f64 v[79:80], v[34:35], v[40:41]
	v_add_u32_e32 v16, s6, v16
	ds_read_b128 v[40:43], v42 offset:30720
	ds_read_b128 v[44:47], v16 offset:2048
	;; [unrolled: 1-line block ×3, first 2 shown]
	v_lshrrev_b32_e32 v16, 8, v61
	v_and_b32_e32 v16, 0x3f0, v16
	v_add_u32_e32 v87, v61, v49
	v_add_u32_e32 v16, s6, v16
	v_lshrrev_b32_e32 v17, 2, v87
	ds_read_b128 v[55:58], v16 offset:2048
	v_and_b32_e32 v16, 63, v87
	v_and_b32_e32 v17, 0x3f0, v17
	s_waitcnt lgkmcnt(1)
	v_mul_f64 v[81:82], v[42:43], v[53:54]
	v_mul_f64 v[53:54], v[40:41], v[53:54]
	v_add_f64 v[83:84], v[63:64], -v[59:60]
	v_lshl_add_u32 v16, v16, 4, 0
	v_add_u32_e32 v59, s6, v17
	v_fma_f64 v[96:97], v[18:19], 2.0, -v[92:93]
	ds_read_b128 v[16:19], v16 offset:30720
	ds_read_b128 v[59:62], v59 offset:1024
	v_mul_f64 v[85:86], v[67:68], v[75:76]
	v_mul_f64 v[75:76], v[69:70], v[75:76]
	v_fma_f64 v[77:78], v[34:35], v[38:39], -v[77:78]
	v_fma_f64 v[81:82], v[40:41], v[51:52], -v[81:82]
	s_waitcnt lgkmcnt(0)
	v_mul_f64 v[34:35], v[18:19], v[61:62]
	v_fma_f64 v[98:99], v[42:43], v[51:52], v[53:54]
	v_add_u32_e32 v51, v87, v49
	v_fma_f64 v[79:80], v[36:37], v[38:39], v[79:80]
	v_fma_f64 v[88:89], v[69:70], v[32:33], -v[85:86]
	v_fma_f64 v[90:91], v[67:68], v[32:33], v[75:76]
	v_lshrrev_b32_e32 v33, 2, v51
	v_and_b32_e32 v33, 0x3f0, v33
	v_mul_f64 v[61:62], v[16:17], v[61:62]
	v_add_u32_e32 v40, s6, v33
	v_lshrrev_b32_e32 v33, 8, v87
	v_and_b32_e32 v32, 63, v51
	v_and_b32_e32 v33, 0x3f0, v33
	v_lshl_add_u32 v32, v32, 4, 0
	v_add_u32_e32 v36, s6, v33
	v_fma_f64 v[16:17], v[16:17], v[59:60], -v[34:35]
	ds_read_b128 v[32:35], v32 offset:30720
	ds_read_b128 v[36:39], v36 offset:2048
	;; [unrolled: 1-line block ×3, first 2 shown]
	v_mul_f64 v[67:68], v[79:80], v[46:47]
	v_mul_f64 v[46:47], v[77:78], v[46:47]
	v_fma_f64 v[18:19], v[18:19], v[59:60], v[61:62]
	v_mul_f64 v[61:62], v[98:99], v[57:58]
	s_waitcnt lgkmcnt(0)
	v_mul_f64 v[69:70], v[34:35], v[42:43]
	v_mul_f64 v[42:43], v[32:33], v[42:43]
	v_lshrrev_b32_e32 v51, 8, v51
	v_and_b32_e32 v51, 0x3f0, v51
	v_add_u32_e32 v51, s6, v51
	v_fma_f64 v[59:60], v[63:64], 2.0, -v[83:84]
	v_fma_f64 v[63:64], v[44:45], v[77:78], -v[67:68]
	v_lshlrev_b32_e32 v67, 4, v108
	ds_read_b128 v[51:54], v51 offset:2048
	v_fma_f64 v[44:45], v[44:45], v[79:80], v[46:47]
	v_fma_f64 v[32:33], v[32:33], v[40:41], -v[69:70]
	v_fma_f64 v[34:35], v[34:35], v[40:41], v[42:43]
	v_mul_f64 v[40:41], v[81:82], v[57:58]
	v_fma_f64 v[57:58], v[55:56], v[81:82], -v[61:62]
	global_load_dwordx4 v[76:79], v67, s[28:29] offset:608
	v_add_f64 v[61:62], v[71:72], -v[83:84]
	global_load_dwordx4 v[80:83], v67, s[28:29] offset:592
	global_load_dwordx4 v[84:87], v67, s[28:29] offset:576
	v_add_f64 v[73:74], v[65:66], -v[73:74]
	v_add_f64 v[42:43], v[96:97], -v[59:60]
	v_mul_f64 v[59:60], v[18:19], v[38:39]
	v_mul_f64 v[38:39], v[16:17], v[38:39]
	v_fma_f64 v[40:41], v[55:56], v[98:99], v[40:41]
	s_waitcnt lgkmcnt(0)
	v_mul_f64 v[55:56], v[32:33], v[53:54]
	v_mul_f64 v[53:54], v[34:35], v[53:54]
	v_fma_f64 v[71:72], v[71:72], 2.0, -v[61:62]
	v_fma_f64 v[46:47], v[65:66], 2.0, -v[73:74]
	v_add_f64 v[65:66], v[92:93], v[73:74]
	v_fma_f64 v[67:68], v[96:97], 2.0, -v[42:43]
	v_fma_f64 v[18:19], v[36:37], v[18:19], v[38:39]
	v_fma_f64 v[16:17], v[36:37], v[16:17], -v[59:60]
	v_fma_f64 v[34:35], v[51:52], v[34:35], v[55:56]
	v_fma_f64 v[32:33], v[51:52], v[32:33], -v[53:54]
	v_add_f64 v[46:47], v[94:95], -v[46:47]
	v_fma_f64 v[73:74], v[92:93], 2.0, -v[65:66]
	v_mul_f64 v[38:39], v[67:68], v[44:45]
	v_mul_f64 v[51:52], v[42:43], v[18:19]
	v_fma_f64 v[69:70], v[94:95], 2.0, -v[46:47]
	v_mul_f64 v[18:19], v[46:47], v[18:19]
	v_fma_f64 v[96:97], v[46:47], v[16:17], -v[51:52]
	v_mul_f64 v[36:37], v[69:70], v[44:45]
	v_mul_f64 v[44:45], v[73:74], v[40:41]
	v_mul_f64 v[40:41], v[71:72], v[40:41]
	v_fma_f64 v[104:105], v[69:70], v[63:64], -v[38:39]
	v_mul_f64 v[38:39], v[65:66], v[34:35]
	v_mul_f64 v[34:35], v[61:62], v[34:35]
	v_fma_f64 v[98:99], v[42:43], v[16:17], v[18:19]
	v_fma_f64 v[106:107], v[67:68], v[63:64], v[36:37]
	v_fma_f64 v[100:101], v[71:72], v[57:58], -v[44:45]
	v_mul_lo_u32 v44, v50, v48
	v_fma_f64 v[102:103], v[73:74], v[57:58], v[40:41]
	v_fma_f64 v[92:93], v[61:62], v[32:33], -v[38:39]
	v_fma_f64 v[94:95], v[65:66], v[32:33], v[34:35]
	v_and_b32_e32 v16, 63, v44
	v_lshrrev_b32_e32 v17, 2, v44
	v_lshl_add_u32 v16, v16, 4, 0
	v_and_b32_e32 v17, 0x3f0, v17
	v_add_u32_e32 v17, s6, v17
	ds_read_b128 v[36:39], v16 offset:30720
	ds_read_b128 v[40:43], v17 offset:1024
	v_lshrrev_b32_e32 v16, 8, v44
	v_add_u32_e32 v44, v44, v49
	v_and_b32_e32 v17, 63, v44
	v_lshrrev_b32_e32 v45, 2, v44
	v_lshrrev_b32_e32 v46, 8, v44
	v_add_u32_e32 v44, v44, v49
	v_and_b32_e32 v47, 63, v44
	v_lshrrev_b32_e32 v48, 2, v44
	v_lshrrev_b32_e32 v50, 8, v44
	v_add_u32_e32 v44, v44, v49
	v_and_b32_e32 v49, 63, v44
	v_lshl_add_u32 v56, v49, 4, 0
	v_lshrrev_b32_e32 v49, 2, v44
	v_lshrrev_b32_e32 v44, 8, v44
	v_and_b32_e32 v16, 0x3f0, v16
	v_and_b32_e32 v45, 0x3f0, v45
	;; [unrolled: 1-line block ×7, first 2 shown]
	v_add_u32_e32 v16, s6, v16
	v_lshl_add_u32 v32, v17, 4, 0
	v_add_u32_e32 v45, s6, v45
	v_add_u32_e32 v46, s6, v46
	v_lshl_add_u32 v47, v47, 4, 0
	v_add_u32_e32 v48, s6, v48
	v_add_u32_e32 v50, s6, v50
	;; [unrolled: 1-line block ×4, first 2 shown]
	ds_read_b128 v[16:19], v16 offset:2048
	ds_read_b128 v[32:35], v32 offset:30720
	;; [unrolled: 1-line block ×10, first 2 shown]
	s_cbranch_vccz .LBB0_22
; %bb.19:
	s_mov_b64 s[8:9], 0
	s_mov_b64 s[6:7], 0
                                        ; implicit-def: $vgpr108_vgpr109
	s_and_saveexec_b64 s[10:11], s[2:3]
	s_xor_b64 s[2:3], exec, s[10:11]
	s_cbranch_execz .LBB0_21
; %bb.20:
	v_mad_u64_u32 v[108:109], s[6:7], s18, v115, 0
	v_mad_u64_u32 v[119:120], s[6:7], s16, v113, 0
	;; [unrolled: 1-line block ×3, first 2 shown]
	v_mov_b32_e32 v109, v120
	v_mad_u64_u32 v[122:123], s[6:7], s17, v113, v[109:110]
	s_lshl_b64 s[6:7], s[4:5], 4
	s_add_u32 s10, s22, s6
	s_addc_u32 s6, s23, s7
	v_mov_b32_e32 v109, v121
	v_mov_b32_e32 v120, v122
	;; [unrolled: 1-line block ×3, first 2 shown]
	v_mad_u64_u32 v[121:122], s[6:7], s16, v116, 0
	v_lshlrev_b64 v[108:109], 4, v[108:109]
	v_lshlrev_b64 v[119:120], 4, v[119:120]
	v_add_co_u32_e32 v108, vcc, s10, v108
	v_addc_co_u32_e32 v109, vcc, v123, v109, vcc
	v_mad_u64_u32 v[122:123], s[6:7], s17, v116, v[122:123]
	v_add_co_u32_e32 v119, vcc, v108, v119
	v_addc_co_u32_e32 v120, vcc, v109, v120, vcc
	v_add_u32_e32 v123, 0x50, v113
	global_store_dwordx4 v[119:120], v[28:31], off
	v_lshlrev_b64 v[119:120], 4, v[121:122]
	v_mad_u64_u32 v[121:122], s[6:7], s16, v123, 0
	v_add_u32_e32 v125, 0x78, v113
	v_add_co_u32_e32 v119, vcc, v108, v119
	v_mad_u64_u32 v[122:123], s[6:7], s17, v123, v[122:123]
	v_mad_u64_u32 v[123:124], s[6:7], s16, v125, 0
	v_addc_co_u32_e32 v120, vcc, v109, v120, vcc
	global_store_dwordx4 v[119:120], v[20:23], off
	v_lshlrev_b64 v[119:120], 4, v[121:122]
	v_mov_b32_e32 v121, v124
	v_mad_u64_u32 v[121:122], s[6:7], s17, v125, v[121:122]
	s_movk_i32 s6, 0x78
	v_mad_u32_u24 v125, v118, s6, v117
	v_mov_b32_e32 v124, v121
	v_mad_u64_u32 v[121:122], s[6:7], s16, v125, 0
	v_add_co_u32_e32 v119, vcc, v108, v119
	v_addc_co_u32_e32 v120, vcc, v109, v120, vcc
	global_store_dwordx4 v[119:120], v[24:27], off
	v_lshlrev_b64 v[119:120], 4, v[123:124]
	v_mad_u64_u32 v[122:123], s[6:7], s17, v125, v[122:123]
	v_add_u32_e32 v126, 40, v125
	v_mad_u64_u32 v[123:124], s[6:7], s16, v126, 0
	v_add_co_u32_e32 v119, vcc, v108, v119
	v_addc_co_u32_e32 v120, vcc, v109, v120, vcc
	global_store_dwordx4 v[119:120], v[88:91], off
	v_lshlrev_b64 v[119:120], 4, v[121:122]
	v_mov_b32_e32 v121, v124
	v_mad_u64_u32 v[121:122], s[6:7], s17, v126, v[121:122]
	v_add_co_u32_e32 v119, vcc, v108, v119
	v_addc_co_u32_e32 v120, vcc, v109, v120, vcc
	v_mov_b32_e32 v124, v121
	global_store_dwordx4 v[119:120], v[104:107], off
	v_lshlrev_b64 v[119:120], 4, v[123:124]
	v_add_u32_e32 v123, 0x50, v125
	v_mad_u64_u32 v[121:122], s[6:7], s16, v123, 0
	v_add_u32_e32 v125, 0x78, v125
	v_add_co_u32_e32 v119, vcc, v108, v119
	v_mad_u64_u32 v[122:123], s[6:7], s17, v123, v[122:123]
	v_mad_u64_u32 v[123:124], s[6:7], s16, v125, 0
	v_addc_co_u32_e32 v120, vcc, v109, v120, vcc
	global_store_dwordx4 v[119:120], v[100:103], off
	v_lshlrev_b64 v[119:120], 4, v[121:122]
	v_mov_b32_e32 v121, v124
	v_mad_u64_u32 v[121:122], s[6:7], s17, v125, v[121:122]
	v_add_co_u32_e32 v119, vcc, v108, v119
	v_addc_co_u32_e32 v120, vcc, v109, v120, vcc
	v_mov_b32_e32 v124, v121
	global_store_dwordx4 v[119:120], v[96:99], off
	v_lshlrev_b64 v[119:120], 4, v[123:124]
	s_and_b64 s[6:7], s[0:1], exec
	v_add_co_u32_e32 v119, vcc, v108, v119
	v_addc_co_u32_e32 v120, vcc, v109, v120, vcc
	global_store_dwordx4 v[119:120], v[92:95], off
.LBB0_21:
	s_or_b64 exec, exec, s[2:3]
	s_and_b64 vcc, exec, s[8:9]
	s_cbranch_vccnz .LBB0_23
	s_branch .LBB0_24
.LBB0_22:
	s_mov_b64 s[6:7], 0
                                        ; implicit-def: $vgpr108_vgpr109
	s_cbranch_execz .LBB0_24
.LBB0_23:
	v_mad_u64_u32 v[108:109], s[2:3], s18, v115, 0
	v_mad_u64_u32 v[119:120], s[2:3], s16, v113, 0
	;; [unrolled: 1-line block ×3, first 2 shown]
	v_mov_b32_e32 v109, v120
	v_mad_u64_u32 v[122:123], s[2:3], s17, v113, v[109:110]
	s_lshl_b64 s[2:3], s[4:5], 4
	s_add_u32 s4, s22, s2
	s_addc_u32 s2, s23, s3
	v_mov_b32_e32 v109, v121
	v_mov_b32_e32 v120, v122
	;; [unrolled: 1-line block ×3, first 2 shown]
	v_mad_u64_u32 v[121:122], s[2:3], s16, v116, 0
	v_lshlrev_b64 v[108:109], 4, v[108:109]
	v_lshlrev_b64 v[119:120], 4, v[119:120]
	v_add_co_u32_e32 v108, vcc, s4, v108
	v_addc_co_u32_e32 v109, vcc, v115, v109, vcc
	v_mov_b32_e32 v115, v122
	v_mad_u64_u32 v[115:116], s[2:3], s17, v116, v[115:116]
	v_add_co_u32_e32 v119, vcc, v108, v119
	v_addc_co_u32_e32 v120, vcc, v109, v120, vcc
	v_mov_b32_e32 v122, v115
	v_add_u32_e32 v115, 0x50, v113
	global_store_dwordx4 v[119:120], v[28:31], off
	v_add_u32_e32 v113, 0x78, v113
	v_mad_u64_u32 v[30:31], s[2:3], s16, v115, 0
	v_lshlrev_b64 v[28:29], 4, v[121:122]
	v_mad_u64_u32 v[119:120], s[2:3], s16, v113, 0
	s_waitcnt lgkmcnt(8)
	v_mad_u64_u32 v[115:116], s[2:3], s17, v115, v[31:32]
	v_add_co_u32_e32 v28, vcc, v108, v28
	v_addc_co_u32_e32 v29, vcc, v109, v29, vcc
	v_mov_b32_e32 v31, v115
	global_store_dwordx4 v[28:29], v[20:23], off
	s_and_b64 s[0:1], s[0:1], exec
	v_lshlrev_b64 v[20:21], 4, v[30:31]
	v_mov_b32_e32 v22, v120
	v_mad_u64_u32 v[22:23], s[2:3], s17, v113, v[22:23]
	v_add_co_u32_e32 v20, vcc, v108, v20
	v_addc_co_u32_e32 v21, vcc, v109, v21, vcc
	s_movk_i32 s2, 0x78
	global_store_dwordx4 v[20:21], v[24:27], off
	v_mov_b32_e32 v120, v22
	v_mad_u32_u24 v26, v118, s2, v117
	v_mad_u64_u32 v[22:23], s[2:3], s16, v26, 0
	v_add_u32_e32 v27, 40, v26
	v_lshlrev_b64 v[20:21], 4, v[119:120]
	v_mad_u64_u32 v[23:24], s[2:3], s17, v26, v[23:24]
	v_mad_u64_u32 v[24:25], s[2:3], s16, v27, 0
	v_add_co_u32_e32 v20, vcc, v108, v20
	v_addc_co_u32_e32 v21, vcc, v109, v21, vcc
	global_store_dwordx4 v[20:21], v[88:91], off
	v_lshlrev_b64 v[20:21], 4, v[22:23]
	v_mov_b32_e32 v22, v25
	v_mad_u64_u32 v[22:23], s[2:3], s17, v27, v[22:23]
	v_add_co_u32_e32 v20, vcc, v108, v20
	v_addc_co_u32_e32 v21, vcc, v109, v21, vcc
	v_mov_b32_e32 v25, v22
	global_store_dwordx4 v[20:21], v[104:107], off
	v_lshlrev_b64 v[20:21], 4, v[24:25]
	v_add_u32_e32 v24, 0x50, v26
	v_mad_u64_u32 v[22:23], s[2:3], s16, v24, 0
	v_add_u32_e32 v26, 0x78, v26
	v_add_co_u32_e32 v20, vcc, v108, v20
	v_mad_u64_u32 v[23:24], s[2:3], s17, v24, v[23:24]
	v_mad_u64_u32 v[24:25], s[2:3], s16, v26, 0
	v_addc_co_u32_e32 v21, vcc, v109, v21, vcc
	global_store_dwordx4 v[20:21], v[100:103], off
	v_lshlrev_b64 v[20:21], 4, v[22:23]
	v_mov_b32_e32 v22, v25
	v_mad_u64_u32 v[22:23], s[2:3], s17, v26, v[22:23]
	v_add_co_u32_e32 v20, vcc, v108, v20
	v_addc_co_u32_e32 v21, vcc, v109, v21, vcc
	v_mov_b32_e32 v25, v22
	global_store_dwordx4 v[20:21], v[96:99], off
	v_lshlrev_b64 v[20:21], 4, v[24:25]
	s_andn2_b64 s[2:3], s[6:7], exec
	v_add_co_u32_e32 v20, vcc, v108, v20
	v_addc_co_u32_e32 v21, vcc, v109, v21, vcc
	s_or_b64 s[6:7], s[2:3], s[0:1]
	global_store_dwordx4 v[20:21], v[92:95], off
.LBB0_24:
	s_and_saveexec_b64 s[0:1], s[6:7]
	s_cbranch_execnz .LBB0_26
; %bb.25:
	s_endpgm
.LBB0_26:
	s_waitcnt vmcnt(0)
	v_mul_f64 v[20:21], v[14:15], v[86:87]
	v_mul_f64 v[22:23], v[12:13], v[86:87]
	;; [unrolled: 1-line block ×6, first 2 shown]
	v_fma_f64 v[12:13], v[12:13], v[84:85], -v[20:21]
	v_fma_f64 v[14:15], v[14:15], v[84:85], v[22:23]
	v_fma_f64 v[0:1], v[0:1], v[80:81], -v[24:25]
	v_fma_f64 v[2:3], v[2:3], v[80:81], v[26:27]
	;; [unrolled: 2-line block ×3, first 2 shown]
	s_waitcnt lgkmcnt(10)
	v_mul_f64 v[20:21], v[38:39], v[42:43]
	v_mul_f64 v[22:23], v[36:37], v[42:43]
	s_waitcnt lgkmcnt(7)
	v_mul_f64 v[24:25], v[34:35], v[74:75]
	s_waitcnt lgkmcnt(4)
	v_mul_f64 v[28:29], v[66:67], v[70:71]
	v_add_f64 v[0:1], v[8:9], -v[0:1]
	v_add_f64 v[2:3], v[10:11], -v[2:3]
	v_add_f64 v[4:5], v[12:13], -v[4:5]
	v_add_f64 v[6:7], v[14:15], -v[6:7]
	v_fma_f64 v[20:21], v[36:37], v[40:41], -v[20:21]
	v_fma_f64 v[22:23], v[38:39], v[40:41], v[22:23]
	v_mul_f64 v[26:27], v[32:33], v[74:75]
	s_waitcnt lgkmcnt(1)
	v_mul_f64 v[42:43], v[58:59], v[62:63]
	v_fma_f64 v[8:9], v[8:9], 2.0, -v[0:1]
	v_fma_f64 v[10:11], v[10:11], 2.0, -v[2:3]
	;; [unrolled: 1-line block ×4, first 2 shown]
	v_add_f64 v[36:37], v[0:1], -v[6:7]
	v_add_f64 v[38:39], v[2:3], v[4:5]
	v_fma_f64 v[4:5], v[32:33], v[72:73], -v[24:25]
	v_mul_f64 v[30:31], v[64:65], v[70:71]
	v_fma_f64 v[6:7], v[64:65], v[68:69], -v[28:29]
	v_mul_f64 v[24:25], v[22:23], v[18:19]
	v_add_f64 v[12:13], v[8:9], -v[12:13]
	v_add_f64 v[14:15], v[10:11], -v[14:15]
	v_mul_f64 v[18:19], v[20:21], v[18:19]
	v_fma_f64 v[28:29], v[0:1], 2.0, -v[36:37]
	v_fma_f64 v[32:33], v[2:3], 2.0, -v[38:39]
	;; [unrolled: 1-line block ×4, first 2 shown]
	v_fma_f64 v[8:9], v[34:35], v[72:73], v[26:27]
	v_mul_f64 v[10:11], v[4:5], v[54:55]
	v_mul_f64 v[26:27], v[56:57], v[62:63]
	v_fma_f64 v[34:35], v[56:57], v[60:61], -v[42:43]
	v_fma_f64 v[18:19], v[16:17], v[22:23], v[18:19]
	v_fma_f64 v[22:23], v[66:67], v[68:69], v[30:31]
	v_mul_f64 v[30:31], v[6:7], v[50:51]
	v_fma_f64 v[16:17], v[16:17], v[20:21], -v[24:25]
	v_mul_f64 v[20:21], v[8:9], v[54:55]
	v_fma_f64 v[8:9], v[52:53], v[8:9], v[10:11]
	v_fma_f64 v[10:11], v[58:59], v[60:61], v[26:27]
	s_waitcnt lgkmcnt(0)
	v_mul_f64 v[24:25], v[34:35], v[46:47]
	v_mul_f64 v[26:27], v[2:3], v[18:19]
	;; [unrolled: 1-line block ×3, first 2 shown]
	v_fma_f64 v[22:23], v[48:49], v[22:23], v[30:31]
	v_mul_f64 v[18:19], v[0:1], v[18:19]
	v_fma_f64 v[20:21], v[52:53], v[4:5], -v[20:21]
	v_mul_f64 v[4:5], v[32:33], v[8:9]
	v_mul_f64 v[8:9], v[28:29], v[8:9]
	;; [unrolled: 1-line block ×3, first 2 shown]
	v_fma_f64 v[10:11], v[44:45], v[10:11], v[24:25]
	v_fma_f64 v[24:25], v[48:49], v[6:7], -v[40:41]
	v_fma_f64 v[0:1], v[0:1], v[16:17], -v[26:27]
	v_fma_f64 v[2:3], v[2:3], v[16:17], v[18:19]
	v_mul_f64 v[16:17], v[12:13], v[22:23]
	v_fma_f64 v[4:5], v[28:29], v[20:21], -v[4:5]
	v_fma_f64 v[6:7], v[32:33], v[20:21], v[8:9]
	v_mad_u64_u32 v[20:21], s[0:1], s16, v114, 0
	v_mul_f64 v[40:41], v[14:15], v[22:23]
	v_fma_f64 v[18:19], v[44:45], v[34:35], -v[30:31]
	v_mul_f64 v[22:23], v[38:39], v[10:11]
	v_mul_f64 v[26:27], v[36:37], v[10:11]
	v_fma_f64 v[10:11], v[14:15], v[24:25], v[16:17]
	v_mov_b32_e32 v14, v21
	v_mad_u64_u32 v[16:17], s[0:1], s17, v114, v[14:15]
	v_fma_f64 v[8:9], v[12:13], v[24:25], -v[40:41]
	v_fma_f64 v[12:13], v[36:37], v[18:19], -v[22:23]
	v_mad_u64_u32 v[22:23], s[0:1], s16, v112, 0
	v_mov_b32_e32 v21, v16
	v_lshlrev_b64 v[16:17], 4, v[20:21]
	v_fma_f64 v[14:15], v[38:39], v[18:19], v[26:27]
	v_add_co_u32_e32 v16, vcc, v108, v16
	v_mov_b32_e32 v18, v23
	v_addc_co_u32_e32 v17, vcc, v109, v17, vcc
	v_mad_u64_u32 v[18:19], s[0:1], s17, v112, v[18:19]
	global_store_dwordx4 v[16:17], v[0:3], off
	v_mov_b32_e32 v23, v18
	v_mad_u64_u32 v[2:3], s[0:1], s16, v111, 0
	v_lshlrev_b64 v[0:1], 4, v[22:23]
	v_mad_u64_u32 v[16:17], s[0:1], s17, v111, v[3:4]
	v_mad_u64_u32 v[17:18], s[0:1], s16, v110, 0
	v_add_co_u32_e32 v0, vcc, v108, v0
	v_addc_co_u32_e32 v1, vcc, v109, v1, vcc
	v_mov_b32_e32 v3, v16
	global_store_dwordx4 v[0:1], v[4:7], off
	v_lshlrev_b64 v[0:1], 4, v[2:3]
	v_mov_b32_e32 v2, v18
	v_mad_u64_u32 v[2:3], s[0:1], s17, v110, v[2:3]
	v_add_co_u32_e32 v0, vcc, v108, v0
	v_addc_co_u32_e32 v1, vcc, v109, v1, vcc
	v_mov_b32_e32 v18, v2
	global_store_dwordx4 v[0:1], v[8:11], off
	v_lshlrev_b64 v[0:1], 4, v[17:18]
	v_add_co_u32_e32 v0, vcc, v108, v0
	v_addc_co_u32_e32 v1, vcc, v109, v1, vcc
	global_store_dwordx4 v[0:1], v[12:15], off
	s_endpgm
	.section	.rodata,"a",@progbits
	.p2align	6, 0x0
	.amdhsa_kernel fft_rtc_fwd_len160_factors_4_10_4_wgs_192_tpt_16_dp_op_CI_CI_sbcc_twdbase6_3step_dirReg_intrinsicRead
		.amdhsa_group_segment_fixed_size 0
		.amdhsa_private_segment_fixed_size 0
		.amdhsa_kernarg_size 112
		.amdhsa_user_sgpr_count 6
		.amdhsa_user_sgpr_private_segment_buffer 1
		.amdhsa_user_sgpr_dispatch_ptr 0
		.amdhsa_user_sgpr_queue_ptr 0
		.amdhsa_user_sgpr_kernarg_segment_ptr 1
		.amdhsa_user_sgpr_dispatch_id 0
		.amdhsa_user_sgpr_flat_scratch_init 0
		.amdhsa_user_sgpr_private_segment_size 0
		.amdhsa_uses_dynamic_stack 0
		.amdhsa_system_sgpr_private_segment_wavefront_offset 0
		.amdhsa_system_sgpr_workgroup_id_x 1
		.amdhsa_system_sgpr_workgroup_id_y 0
		.amdhsa_system_sgpr_workgroup_id_z 0
		.amdhsa_system_sgpr_workgroup_info 0
		.amdhsa_system_vgpr_workitem_id 0
		.amdhsa_next_free_vgpr 127
		.amdhsa_next_free_sgpr 53
		.amdhsa_reserve_vcc 1
		.amdhsa_reserve_flat_scratch 0
		.amdhsa_float_round_mode_32 0
		.amdhsa_float_round_mode_16_64 0
		.amdhsa_float_denorm_mode_32 3
		.amdhsa_float_denorm_mode_16_64 3
		.amdhsa_dx10_clamp 1
		.amdhsa_ieee_mode 1
		.amdhsa_fp16_overflow 0
		.amdhsa_exception_fp_ieee_invalid_op 0
		.amdhsa_exception_fp_denorm_src 0
		.amdhsa_exception_fp_ieee_div_zero 0
		.amdhsa_exception_fp_ieee_overflow 0
		.amdhsa_exception_fp_ieee_underflow 0
		.amdhsa_exception_fp_ieee_inexact 0
		.amdhsa_exception_int_div_zero 0
	.end_amdhsa_kernel
	.text
.Lfunc_end0:
	.size	fft_rtc_fwd_len160_factors_4_10_4_wgs_192_tpt_16_dp_op_CI_CI_sbcc_twdbase6_3step_dirReg_intrinsicRead, .Lfunc_end0-fft_rtc_fwd_len160_factors_4_10_4_wgs_192_tpt_16_dp_op_CI_CI_sbcc_twdbase6_3step_dirReg_intrinsicRead
                                        ; -- End function
	.section	.AMDGPU.csdata,"",@progbits
; Kernel info:
; codeLenInByte = 9000
; NumSgprs: 57
; NumVgprs: 127
; ScratchSize: 0
; MemoryBound: 0
; FloatMode: 240
; IeeeMode: 1
; LDSByteSize: 0 bytes/workgroup (compile time only)
; SGPRBlocks: 7
; VGPRBlocks: 31
; NumSGPRsForWavesPerEU: 57
; NumVGPRsForWavesPerEU: 127
; Occupancy: 2
; WaveLimiterHint : 1
; COMPUTE_PGM_RSRC2:SCRATCH_EN: 0
; COMPUTE_PGM_RSRC2:USER_SGPR: 6
; COMPUTE_PGM_RSRC2:TRAP_HANDLER: 0
; COMPUTE_PGM_RSRC2:TGID_X_EN: 1
; COMPUTE_PGM_RSRC2:TGID_Y_EN: 0
; COMPUTE_PGM_RSRC2:TGID_Z_EN: 0
; COMPUTE_PGM_RSRC2:TIDIG_COMP_CNT: 0
	.type	__hip_cuid_a01da6d4da179afe,@object ; @__hip_cuid_a01da6d4da179afe
	.section	.bss,"aw",@nobits
	.globl	__hip_cuid_a01da6d4da179afe
__hip_cuid_a01da6d4da179afe:
	.byte	0                               ; 0x0
	.size	__hip_cuid_a01da6d4da179afe, 1

	.ident	"AMD clang version 19.0.0git (https://github.com/RadeonOpenCompute/llvm-project roc-6.4.0 25133 c7fe45cf4b819c5991fe208aaa96edf142730f1d)"
	.section	".note.GNU-stack","",@progbits
	.addrsig
	.addrsig_sym __hip_cuid_a01da6d4da179afe
	.amdgpu_metadata
---
amdhsa.kernels:
  - .args:
      - .actual_access:  read_only
        .address_space:  global
        .offset:         0
        .size:           8
        .value_kind:     global_buffer
      - .address_space:  global
        .offset:         8
        .size:           8
        .value_kind:     global_buffer
      - .offset:         16
        .size:           8
        .value_kind:     by_value
      - .actual_access:  read_only
        .address_space:  global
        .offset:         24
        .size:           8
        .value_kind:     global_buffer
      - .actual_access:  read_only
        .address_space:  global
        .offset:         32
        .size:           8
        .value_kind:     global_buffer
      - .actual_access:  read_only
        .address_space:  global
        .offset:         40
        .size:           8
        .value_kind:     global_buffer
      - .offset:         48
        .size:           8
        .value_kind:     by_value
      - .actual_access:  read_only
        .address_space:  global
        .offset:         56
        .size:           8
        .value_kind:     global_buffer
      - .actual_access:  read_only
        .address_space:  global
        .offset:         64
        .size:           8
        .value_kind:     global_buffer
      - .offset:         72
        .size:           4
        .value_kind:     by_value
      - .actual_access:  read_only
        .address_space:  global
        .offset:         80
        .size:           8
        .value_kind:     global_buffer
      - .actual_access:  read_only
        .address_space:  global
        .offset:         88
        .size:           8
        .value_kind:     global_buffer
      - .address_space:  global
        .offset:         96
        .size:           8
        .value_kind:     global_buffer
      - .actual_access:  write_only
        .address_space:  global
        .offset:         104
        .size:           8
        .value_kind:     global_buffer
    .group_segment_fixed_size: 0
    .kernarg_segment_align: 8
    .kernarg_segment_size: 112
    .language:       OpenCL C
    .language_version:
      - 2
      - 0
    .max_flat_workgroup_size: 192
    .name:           fft_rtc_fwd_len160_factors_4_10_4_wgs_192_tpt_16_dp_op_CI_CI_sbcc_twdbase6_3step_dirReg_intrinsicRead
    .private_segment_fixed_size: 0
    .sgpr_count:     57
    .sgpr_spill_count: 0
    .symbol:         fft_rtc_fwd_len160_factors_4_10_4_wgs_192_tpt_16_dp_op_CI_CI_sbcc_twdbase6_3step_dirReg_intrinsicRead.kd
    .uniform_work_group_size: 1
    .uses_dynamic_stack: false
    .vgpr_count:     127
    .vgpr_spill_count: 0
    .wavefront_size: 64
amdhsa.target:   amdgcn-amd-amdhsa--gfx906
amdhsa.version:
  - 1
  - 2
...

	.end_amdgpu_metadata
